;; amdgpu-corpus repo=ROCm/rocFFT kind=compiled arch=gfx1030 opt=O3
	.text
	.amdgcn_target "amdgcn-amd-amdhsa--gfx1030"
	.amdhsa_code_object_version 6
	.protected	bluestein_single_fwd_len13_dim1_sp_op_CI_CI ; -- Begin function bluestein_single_fwd_len13_dim1_sp_op_CI_CI
	.globl	bluestein_single_fwd_len13_dim1_sp_op_CI_CI
	.p2align	8
	.type	bluestein_single_fwd_len13_dim1_sp_op_CI_CI,@function
bluestein_single_fwd_len13_dim1_sp_op_CI_CI: ; @bluestein_single_fwd_len13_dim1_sp_op_CI_CI
; %bb.0:
	s_load_dwordx4 s[8:11], s[4:5], 0x28
	v_lshl_or_b32 v24, s6, 6, v0
	v_mov_b32_e32 v25, 0
	s_mov_b32 s0, exec_lo
	s_waitcnt lgkmcnt(0)
	v_cmpx_gt_u64_e64 s[8:9], v[24:25]
	s_cbranch_execz .LBB0_2
; %bb.1:
	s_clause 0x1
	s_load_dwordx4 s[0:3], s[4:5], 0x18
	s_load_dwordx2 s[6:7], s[4:5], 0x0
	s_waitcnt lgkmcnt(0)
	s_load_dwordx4 s[12:15], s[0:1], 0x0
	s_waitcnt lgkmcnt(0)
	v_mad_u64_u32 v[1:2], null, s14, v24, 0
	s_lshl_b64 s[0:1], s[12:13], 3
	s_lshl_b64 s[8:9], s[12:13], 4
	v_mad_u64_u32 v[2:3], null, s15, v24, v[2:3]
	s_lshl_b64 s[14:15], s[12:13], 5
	v_lshlrev_b64 v[1:2], 3, v[1:2]
	v_add_co_u32 v1, vcc_lo, s10, v1
	v_add_co_ci_u32_e32 v2, vcc_lo, s11, v2, vcc_lo
	s_lshl_b64 s[10:11], s[12:13], 6
	v_add_co_u32 v3, vcc_lo, v1, s0
	v_add_co_ci_u32_e32 v4, vcc_lo, s1, v2, vcc_lo
	v_add_co_u32 v5, vcc_lo, v1, s8
	v_add_co_ci_u32_e32 v6, vcc_lo, s9, v2, vcc_lo
	;; [unrolled: 2-line block ×4, first 2 shown]
	v_mad_u64_u32 v[7:8], null, s12, 24, v[1:2]
	v_mad_u64_u32 v[11:12], null, s12, 40, v[1:2]
	;; [unrolled: 1-line block ×8, first 2 shown]
	s_clause 0x4
	global_load_dwordx2 v[1:2], v[1:2], off
	global_load_dwordx2 v[3:4], v[3:4], off
	;; [unrolled: 1-line block ×5, first 2 shown]
	v_mov_b32_e32 v23, v26
	v_mov_b32_e32 v26, v28
	s_waitcnt vmcnt(1)
	v_mad_u64_u32 v[28:29], null, s13, 24, v[8:9]
	v_mad_u64_u32 v[29:30], null, s13, 40, v[12:13]
	;; [unrolled: 1-line block ×3, first 2 shown]
	s_waitcnt vmcnt(0)
	v_mad_u64_u32 v[31:32], null, s13, 56, v[16:17]
	v_mad_u64_u32 v[32:33], null, 0x48, s13, v[20:21]
	v_mad_u64_u32 v[33:34], null, 0x50, s13, v[22:23]
	v_mad_u64_u32 v[34:35], null, 0x58, s13, v[23:24]
	v_mov_b32_e32 v8, v28
	v_mov_b32_e32 v12, v29
	;; [unrolled: 1-line block ×4, first 2 shown]
	v_mad_u64_u32 v[28:29], null, 0x60, s13, v[26:27]
	s_clause 0x3
	global_load_dwordx2 v[7:8], v[7:8], off
	global_load_dwordx2 v[11:12], v[11:12], off
	global_load_dwordx2 v[13:14], v[13:14], off
	global_load_dwordx2 v[15:16], v[15:16], off
	v_mov_b32_e32 v20, v32
	v_mov_b32_e32 v22, v33
	;; [unrolled: 1-line block ×3, first 2 shown]
	s_clause 0x3
	global_load_dwordx2 v[19:20], v[19:20], off
	global_load_dwordx2 v[21:22], v[21:22], off
	;; [unrolled: 1-line block ×4, first 2 shown]
	s_clause 0x1
	s_load_dwordx16 s[36:51], s[6:7], 0x0
	s_load_dwordx16 s[8:23], s[6:7], 0x40
	v_mul_u32_u24_e32 v27, 0x68, v0
	s_load_dwordx4 s[0:3], s[2:3], 0x0
	s_waitcnt lgkmcnt(0)
	v_mul_f32_e32 v30, s37, v2
	v_mul_f32_e32 v23, s37, v1
	;; [unrolled: 1-line block ×5, first 2 shown]
	v_fmac_f32_e32 v30, s36, v1
	v_mul_f32_e32 v1, s39, v3
	v_fma_f32 v31, v2, s36, -v23
	v_fmac_f32_e32 v0, s38, v3
	v_mul_f32_e32 v2, s41, v6
	v_mul_f32_e32 v23, s41, v5
	v_fma_f32 v1, v4, s38, -v1
	v_mul_f32_e32 v35, s9, v17
	v_mul_f32_e32 v34, s9, v18
	v_fmac_f32_e32 v2, s40, v5
	v_fma_f32 v3, v6, s40, -v23
	ds_write2_b64 v27, v[30:31], v[0:1] offset1:1
	v_fmac_f32_e32 v32, s44, v9
	v_fma_f32 v33, v10, s44, -v33
	v_fma_f32 v35, v18, s8, -v35
	v_fmac_f32_e32 v34, s8, v17
	s_waitcnt vmcnt(7)
	v_mul_f32_e32 v0, s43, v8
	v_mul_f32_e32 v1, s43, v7
	s_waitcnt vmcnt(6)
	v_mul_f32_e32 v4, s47, v12
	v_mul_f32_e32 v5, s47, v11
	;; [unrolled: 3-line block ×8, first 2 shown]
	v_fmac_f32_e32 v0, s42, v7
	v_fma_f32 v1, v8, s42, -v1
	v_fmac_f32_e32 v4, s46, v11
	v_fma_f32 v5, v12, s46, -v5
	;; [unrolled: 2-line block ×8, first 2 shown]
	ds_write2_b64 v27, v[2:3], v[0:1] offset0:2 offset1:3
	ds_write2_b64 v27, v[32:33], v[4:5] offset0:4 offset1:5
	;; [unrolled: 1-line block ×5, first 2 shown]
	ds_write_b64 v27, v[38:39] offset:96
	s_waitcnt lgkmcnt(0)
	s_barrier
	buffer_gl0_inv
	ds_read2_b64 v[12:15], v27 offset1:1
	ds_read_b64 v[25:26], v27 offset:96
	ds_read2_b64 v[16:19], v27 offset0:2 offset1:3
	ds_read2_b64 v[0:3], v27 offset0:10 offset1:11
	;; [unrolled: 1-line block ×5, first 2 shown]
	s_waitcnt lgkmcnt(6)
	v_add_f32_e32 v30, v12, v14
	v_add_f32_e32 v31, v13, v15
	s_waitcnt lgkmcnt(5)
	v_sub_f32_e32 v35, v15, v26
	s_waitcnt lgkmcnt(3)
	v_add_f32_e32 v36, v2, v16
	v_add_f32_e32 v37, v3, v17
	v_sub_f32_e32 v38, v16, v2
	v_sub_f32_e32 v39, v17, v3
	v_add_f32_e32 v16, v30, v16
	v_add_f32_e32 v17, v31, v17
	s_waitcnt lgkmcnt(1)
	v_add_f32_e32 v44, v6, v8
	v_add_f32_e32 v45, v7, v9
	v_sub_f32_e32 v46, v8, v6
	v_add_f32_e32 v16, v16, v18
	v_add_f32_e32 v17, v17, v19
	v_sub_f32_e32 v47, v9, v7
	v_add_f32_e32 v32, v25, v14
	v_sub_f32_e32 v34, v14, v25
	v_add_f32_e32 v8, v16, v8
	v_add_f32_e32 v9, v17, v9
	v_mul_f32_e32 v30, 0xbeedf032, v35
	v_add_f32_e32 v33, v26, v15
	v_add_f32_e32 v40, v0, v18
	;; [unrolled: 1-line block ×4, first 2 shown]
	v_sub_f32_e32 v42, v18, v0
	v_sub_f32_e32 v43, v19, v1
	v_mul_f32_e32 v31, 0xbeedf032, v34
	v_mul_f32_e32 v51, 0xbf52af12, v35
	v_mul_f32_e32 v52, 0xbf52af12, v34
	v_mul_f32_e32 v53, 0xbf7e222b, v35
	v_mul_f32_e32 v54, 0xbf7e222b, v34
	v_mul_f32_e32 v55, 0xbf6f5d39, v35
	v_mul_f32_e32 v56, 0xbf6f5d39, v34
	v_mul_f32_e32 v57, 0xbf29c268, v35
	v_mul_f32_e32 v58, 0xbf29c268, v34
	v_mul_f32_e32 v35, 0xbe750f2a, v35
	v_mul_f32_e32 v34, 0xbe750f2a, v34
	v_mul_f32_e32 v59, 0xbf52af12, v39
	v_fma_f32 v18, 0x3f62ad3f, v32, -v30
	s_waitcnt lgkmcnt(0)
	v_add_f32_e32 v8, v8, v20
	v_add_f32_e32 v9, v9, v21
	;; [unrolled: 1-line block ×3, first 2 shown]
	v_mul_f32_e32 v60, 0xbf52af12, v38
	v_mul_f32_e32 v61, 0xbf6f5d39, v39
	;; [unrolled: 1-line block ×12, first 2 shown]
	v_fmamk_f32 v19, v33, 0x3f62ad3f, v31
	v_fmac_f32_e32 v30, 0x3f62ad3f, v32
	v_fma_f32 v31, 0x3f62ad3f, v33, -v31
	v_fma_f32 v90, 0x3f116cb1, v32, -v51
	v_fmamk_f32 v91, v33, 0x3f116cb1, v52
	v_fmac_f32_e32 v51, 0x3f116cb1, v32
	v_fma_f32 v52, 0x3f116cb1, v33, -v52
	v_fma_f32 v92, 0x3df6dbef, v32, -v53
	;; [unrolled: 4-line block ×6, first 2 shown]
	v_add_f32_e32 v18, v12, v18
	v_add_f32_e32 v8, v8, v22
	;; [unrolled: 1-line block ×5, first 2 shown]
	v_sub_f32_e32 v48, v10, v4
	v_sub_f32_e32 v49, v11, v5
	v_mul_f32_e32 v70, 0xbf7e222b, v42
	v_mul_f32_e32 v71, 0xbe750f2a, v43
	;; [unrolled: 1-line block ×12, first 2 shown]
	v_fmamk_f32 v34, v37, 0x3f116cb1, v60
	v_fmac_f32_e32 v59, 0x3f116cb1, v36
	v_fma_f32 v60, 0x3f116cb1, v37, -v60
	v_fma_f32 v100, 0xbeb58ec6, v36, -v61
	v_fmamk_f32 v101, v37, 0xbeb58ec6, v62
	v_fmac_f32_e32 v61, 0xbeb58ec6, v36
	v_fma_f32 v62, 0xbeb58ec6, v37, -v62
	v_fma_f32 v102, 0xbf788fa5, v36, -v63
	;; [unrolled: 4-line block ×6, first 2 shown]
	v_add_f32_e32 v19, v13, v19
	v_add_f32_e32 v30, v12, v30
	;; [unrolled: 1-line block ×26, first 2 shown]
	v_sub_f32_e32 v29, v21, v23
	v_mul_f32_e32 v80, 0x3f29c268, v47
	v_mul_f32_e32 v81, 0x3eedf032, v47
	;; [unrolled: 1-line block ×12, first 2 shown]
	v_fmac_f32_e32 v69, 0x3df6dbef, v40
	v_fma_f32 v38, 0xbf788fa5, v40, -v71
	v_fmac_f32_e32 v71, 0xbf788fa5, v40
	v_fma_f32 v110, 0xbeb58ec6, v40, -v73
	;; [unrolled: 2-line block ×5, first 2 shown]
	v_fmac_f32_e32 v43, 0xbf3f9e67, v40
	v_fmamk_f32 v40, v41, 0x3df6dbef, v70
	v_fma_f32 v70, 0x3df6dbef, v41, -v70
	v_fmamk_f32 v114, v41, 0xbf788fa5, v72
	v_fma_f32 v72, 0xbf788fa5, v41, -v72
	v_fmamk_f32 v115, v41, 0xbeb58ec6, v76
	v_fma_f32 v76, 0xbeb58ec6, v41, -v76
	v_fmamk_f32 v116, v41, 0x3f62ad3f, v77
	v_fma_f32 v77, 0x3f62ad3f, v41, -v77
	v_fmamk_f32 v117, v41, 0x3f116cb1, v78
	v_fma_f32 v78, 0x3f116cb1, v41, -v78
	v_fmamk_f32 v118, v41, 0xbf3f9e67, v42
	v_fma_f32 v41, 0xbf3f9e67, v41, -v42
	v_fma_f32 v42, 0xbeb58ec6, v44, -v79
	v_add_f32_e32 v19, v34, v19
	v_add_f32_e32 v30, v59, v30
	;; [unrolled: 1-line block ×17, first 2 shown]
	v_sub_f32_e32 v50, v20, v22
	v_fmac_f32_e32 v79, 0xbeb58ec6, v44
	v_fma_f32 v119, 0xbf3f9e67, v44, -v80
	v_fmac_f32_e32 v80, 0xbf3f9e67, v44
	v_fma_f32 v120, 0x3f62ad3f, v44, -v81
	;; [unrolled: 2-line block ×5, first 2 shown]
	v_fmac_f32_e32 v47, 0x3f116cb1, v44
	v_fmamk_f32 v44, v45, 0xbeb58ec6, v84
	v_fma_f32 v16, 0xbeb58ec6, v45, -v84
	v_fmamk_f32 v17, v45, 0xbf3f9e67, v85
	v_fma_f32 v84, 0xbf3f9e67, v45, -v85
	;; [unrolled: 2-line block ×6, first 2 shown]
	v_mul_f32_e32 v46, 0xbf29c268, v48
	v_mul_f32_e32 v33, 0x3f7e222b, v49
	;; [unrolled: 1-line block ×9, first 2 shown]
	v_add_f32_e32 v92, v102, v92
	v_mul_f32_e32 v102, 0xbe750f2a, v29
	v_add_f32_e32 v93, v103, v93
	v_fma_f32 v103, 0xbf3f9e67, v15, -v89
	v_add_f32_e32 v19, v40, v19
	v_add_f32_e32 v30, v69, v30
	;; [unrolled: 1-line block ×15, first 2 shown]
	v_mul_f32_e32 v61, 0x3eedf032, v49
	v_mul_f32_e32 v49, 0xbf6f5d39, v49
	v_add_f32_e32 v54, v64, v54
	v_add_f32_e32 v12, v43, v12
	v_fmamk_f32 v63, v28, 0xbf3f9e67, v46
	v_fmac_f32_e32 v89, 0xbf3f9e67, v15
	v_fma_f32 v46, 0xbf3f9e67, v28, -v46
	v_fma_f32 v64, 0x3df6dbef, v15, -v33
	v_fmac_f32_e32 v33, 0x3df6dbef, v15
	v_add_f32_e32 v95, v105, v95
	v_fma_f32 v105, 0x3f116cb1, v15, -v59
	v_fmac_f32_e32 v59, 0x3f116cb1, v15
	v_add_f32_e32 v56, v66, v56
	;; [unrolled: 3-line block ×3, first 2 shown]
	v_fmamk_f32 v67, v28, 0x3f62ad3f, v62
	v_fma_f32 v62, 0x3f62ad3f, v28, -v62
	v_add_f32_e32 v51, v115, v93
	v_add_f32_e32 v19, v44, v19
	;; [unrolled: 1-line block ×15, first 2 shown]
	v_fma_f32 v2, 0xbeb58ec6, v28, -v48
	v_add_f32_e32 v23, v23, v21
	v_fma_f32 v3, 0xbf788fa5, v14, -v102
	v_mul_f32_e32 v4, 0xbe750f2a, v50
	v_fma_f32 v68, 0xbeb58ec6, v15, -v49
	v_add_f32_e32 v40, v110, v92
	v_add_f32_e32 v53, v76, v54
	;; [unrolled: 1-line block ×3, first 2 shown]
	v_fmac_f32_e32 v49, 0xbeb58ec6, v15
	v_add_f32_e32 v94, v104, v94
	v_fmamk_f32 v104, v28, 0x3df6dbef, v34
	v_fma_f32 v34, 0x3df6dbef, v28, -v34
	v_fmamk_f32 v65, v28, 0x3f116cb1, v60
	v_add_f32_e32 v96, v106, v96
	v_add_f32_e32 v69, v116, v95
	;; [unrolled: 1-line block ×15, first 2 shown]
	v_fmamk_f32 v3, v23, 0xbf788fa5, v4
	v_mul_f32_e32 v8, 0x3eedf032, v29
	v_fma_f32 v5, 0xbf788fa5, v23, -v4
	v_mul_f32_e32 v7, 0x3eedf032, v50
	v_fma_f32 v60, 0x3f116cb1, v28, -v60
	v_fmamk_f32 v106, v28, 0xbf788fa5, v101
	v_fma_f32 v101, 0xbf788fa5, v28, -v101
	v_add_f32_e32 v98, v108, v98
	v_fmamk_f32 v108, v28, 0xbeb58ec6, v48
	v_add_f32_e32 v99, v109, v99
	v_add_f32_e32 v36, v120, v40
	;; [unrolled: 1-line block ×4, first 2 shown]
	v_mul_f32_e32 v12, 0xbf29c268, v29
	v_add_f32_e32 v54, v111, v94
	v_add_f32_e32 v70, v112, v96
	;; [unrolled: 1-line block ×8, first 2 shown]
	v_fmac_f32_e32 v102, 0xbf788fa5, v14
	v_add_f32_e32 v3, v3, v9
	v_fma_f32 v6, 0x3f62ad3f, v14, -v8
	v_add_f32_e32 v5, v5, v16
	v_fmamk_f32 v9, v23, 0x3f62ad3f, v7
	v_fma_f32 v10, 0x3f62ad3f, v23, -v7
	v_mul_f32_e32 v16, 0x3f52af12, v50
	v_add_f32_e32 v57, v75, v57
	v_add_f32_e32 v72, v113, v98
	;; [unrolled: 1-line block ×5, first 2 shown]
	v_fma_f32 v11, 0xbf3f9e67, v14, -v12
	v_mul_f32_e32 v13, 0xbf29c268, v50
	v_fma_f32 v107, 0x3f62ad3f, v15, -v61
	v_add_f32_e32 v32, v32, v54
	v_add_f32_e32 v35, v35, v70
	;; [unrolled: 1-line block ×6, first 2 shown]
	v_fmac_f32_e32 v8, 0x3f62ad3f, v14
	v_add_f32_e32 v7, v9, v17
	v_add_f32_e32 v9, v10, v22
	v_mul_f32_e32 v17, 0x3f52af12, v29
	v_fmamk_f32 v18, v23, 0x3f116cb1, v16
	v_fma_f32 v19, 0x3f116cb1, v23, -v16
	v_mul_f32_e32 v21, 0xbf6f5d39, v29
	v_mul_f32_e32 v22, 0xbf6f5d39, v50
	v_fmac_f32_e32 v61, 0x3f62ad3f, v15
	v_add_f32_e32 v42, v83, v57
	v_add_f32_e32 v44, v121, v72
	;; [unrolled: 1-line block ×5, first 2 shown]
	v_fmamk_f32 v11, v23, 0xbf3f9e67, v13
	v_mul_f32_e32 v29, 0x3f7e222b, v29
	v_mul_f32_e32 v25, 0x3f7e222b, v50
	v_add_f32_e32 v32, v66, v32
	v_add_f32_e32 v35, v107, v35
	;; [unrolled: 1-line block ×3, first 2 shown]
	v_fma_f32 v15, 0x3f116cb1, v14, -v17
	v_add_f32_e32 v16, v18, v36
	v_add_f32_e32 v18, v19, v38
	v_fma_f32 v19, 0xbeb58ec6, v14, -v21
	v_fmamk_f32 v20, v23, 0xbeb58ec6, v22
	v_add_f32_e32 v40, v61, v42
	v_add_f32_e32 v42, v68, v44
	;; [unrolled: 1-line block ×4, first 2 shown]
	v_fmac_f32_e32 v12, 0xbf3f9e67, v14
	v_add_f32_e32 v11, v11, v31
	v_fmac_f32_e32 v17, 0x3f116cb1, v14
	v_fmac_f32_e32 v21, 0xbeb58ec6, v14
	v_fma_f32 v30, 0x3df6dbef, v14, -v29
	v_fmamk_f32 v31, v23, 0x3df6dbef, v25
	v_fmac_f32_e32 v29, 0x3df6dbef, v14
	v_fma_f32 v14, 0x3df6dbef, v23, -v25
	v_fma_f32 v22, 0xbeb58ec6, v23, -v22
	;; [unrolled: 1-line block ×3, first 2 shown]
	v_add_f32_e32 v15, v15, v32
	v_add_f32_e32 v19, v19, v35
	v_add_f32_e32 v20, v20, v39
	v_add_f32_e32 v25, v30, v42
	v_add_f32_e32 v26, v31, v26
	v_add_f32_e32 v28, v29, v28
	v_add_f32_e32 v29, v14, v43
	v_add_f32_e32 v17, v17, v37
	v_add_f32_e32 v21, v21, v40
	v_add_f32_e32 v22, v22, v41
	v_add_f32_e32 v12, v12, v33
	v_add_f32_e32 v13, v13, v34
	ds_write2_b64 v27, v[0:1], v[2:3] offset1:1
	ds_write2_b64 v27, v[6:7], v[10:11] offset0:2 offset1:3
	ds_write2_b64 v27, v[15:16], v[19:20] offset0:4 offset1:5
	;; [unrolled: 1-line block ×5, first 2 shown]
	ds_write_b64 v27, v[4:5] offset:96
	s_waitcnt lgkmcnt(0)
	s_barrier
	buffer_gl0_inv
	ds_read2_b64 v[0:3], v27 offset1:1
	ds_read2_b64 v[4:7], v27 offset0:2 offset1:3
	s_load_dwordx16 s[52:67], s[6:7], 0x80
	ds_read2_b64 v[8:11], v27 offset0:4 offset1:5
	s_waitcnt lgkmcnt(0)
	v_mul_f32_e32 v12, s19, v1
	v_mul_f32_e32 v13, s19, v0
	;; [unrolled: 1-line block ×5, first 2 shown]
	v_fma_f32 v12, v0, s18, -v12
	v_fmac_f32_e32 v13, s18, v1
	v_fma_f32 v14, v2, s20, -v14
	v_fmac_f32_e32 v15, s20, v3
	ds_read2_b64 v[0:3], v27 offset0:6 offset1:7
	v_mul_f32_e32 v16, s23, v4
	v_mul_f32_e32 v19, s53, v7
	;; [unrolled: 1-line block ×3, first 2 shown]
	ds_write2_b64 v27, v[12:13], v[14:15] offset1:1
	v_fma_f32 v15, v4, s22, -v17
	v_fmac_f32_e32 v16, s22, v5
	v_fma_f32 v17, v6, s52, -v19
	v_fmac_f32_e32 v18, s52, v7
	ds_read2_b64 v[4:7], v27 offset0:8 offset1:9
	v_mul_f32_e32 v20, s55, v9
	v_mul_f32_e32 v21, s57, v11
	s_load_dwordx4 s[20:23], s[6:7], 0xc0
	ds_write2_b64 v27, v[15:16], v[17:18] offset0:2 offset1:3
	ds_read2_b64 v[12:15], v27 offset0:10 offset1:11
	v_mul_f32_e32 v19, s55, v8
	v_fma_f32 v18, v8, s54, -v20
	v_fma_f32 v8, v10, s56, -v21
	ds_read_b64 v[20:21], v27 offset:96
	s_mov_b32 s6, 0x13b13b14
	s_waitcnt lgkmcnt(0)
	v_mul_f32_e32 v17, s59, v0
	v_mul_f32_e32 v22, s61, v3
	;; [unrolled: 1-line block ×3, first 2 shown]
	v_fmac_f32_e32 v19, s54, v9
	v_mul_f32_e32 v9, s57, v10
	v_mul_f32_e32 v10, s59, v1
	v_fmac_f32_e32 v17, s58, v1
	v_fma_f32 v22, v2, s60, -v22
	v_fmac_f32_e32 v23, s60, v3
	v_mul_f32_e32 v1, s63, v4
	v_mul_f32_e32 v2, s65, v7
	;; [unrolled: 1-line block ×3, first 2 shown]
	v_fma_f32 v16, v0, s58, -v10
	v_mul_f32_e32 v0, s63, v5
	v_mul_f32_e32 v10, s67, v13
	v_fmac_f32_e32 v1, s62, v5
	v_fma_f32 v2, v6, s64, -v2
	v_fmac_f32_e32 v3, s64, v7
	v_mul_f32_e32 v5, s67, v12
	v_mul_f32_e32 v6, s21, v15
	;; [unrolled: 1-line block ×3, first 2 shown]
	v_fmac_f32_e32 v9, s56, v11
	v_fma_f32 v0, v4, s62, -v0
	v_fma_f32 v4, v12, s66, -v10
	v_mul_f32_e32 v10, s23, v21
	v_mul_f32_e32 v11, s23, v20
	v_fmac_f32_e32 v5, s66, v13
	v_fma_f32 v6, v14, s20, -v6
	v_fmac_f32_e32 v7, s20, v15
	v_fma_f32 v10, v20, s22, -v10
	v_fmac_f32_e32 v11, s22, v21
	ds_write2_b64 v27, v[18:19], v[8:9] offset0:4 offset1:5
	ds_write2_b64 v27, v[16:17], v[22:23] offset0:6 offset1:7
	;; [unrolled: 1-line block ×4, first 2 shown]
	ds_write_b64 v27, v[10:11] offset:96
	s_waitcnt lgkmcnt(0)
	s_barrier
	buffer_gl0_inv
	ds_read2_b64 v[6:9], v27 offset1:1
	ds_read2_b64 v[10:13], v27 offset0:2 offset1:3
	ds_read2_b64 v[14:17], v27 offset0:4 offset1:5
	;; [unrolled: 1-line block ×3, first 2 shown]
	s_mov_b32 s7, 0x3fb3b13b
	s_waitcnt lgkmcnt(3)
	v_add_f32_e32 v0, v6, v8
	v_add_f32_e32 v4, v7, v9
	s_waitcnt lgkmcnt(2)
	v_add_f32_e32 v5, v0, v10
	ds_read2_b64 v[0:3], v27 offset0:6 offset1:7
	v_add_f32_e32 v4, v4, v11
	v_add_f32_e32 v5, v5, v12
	;; [unrolled: 1-line block ×3, first 2 shown]
	s_waitcnt lgkmcnt(2)
	v_add_f32_e32 v5, v5, v14
	v_add_f32_e32 v4, v4, v15
	;; [unrolled: 1-line block ×4, first 2 shown]
	ds_read_b64 v[4:5], v27 offset:96
	ds_read2_b64 v[28:31], v27 offset0:10 offset1:11
	s_waitcnt lgkmcnt(2)
	v_add_f32_e32 v22, v22, v0
	v_add_f32_e32 v23, v23, v1
	;; [unrolled: 1-line block ×7, first 2 shown]
	s_waitcnt lgkmcnt(1)
	v_sub_f32_e32 v25, v9, v5
	v_add_f32_e32 v23, v23, v21
	v_add_f32_e32 v26, v4, v8
	;; [unrolled: 1-line block ×3, first 2 shown]
	s_waitcnt lgkmcnt(0)
	v_add_f32_e32 v22, v22, v28
	v_mul_f32_e32 v32, 0xbeedf032, v25
	v_add_f32_e32 v23, v23, v29
	v_sub_f32_e32 v51, v11, v31
	v_sub_f32_e32 v8, v8, v4
	v_add_f32_e32 v22, v22, v30
	v_fmamk_f32 v33, v26, 0x3f62ad3f, v32
	v_add_f32_e32 v23, v23, v31
	v_mul_f32_e32 v34, 0x3f62ad3f, v9
	v_mul_f32_e32 v35, 0x3f116cb1, v9
	v_add_f32_e32 v4, v22, v4
	v_add_f32_e32 v22, v6, v33
	v_mul_f32_e32 v33, 0xbf52af12, v25
	v_mul_f32_e32 v38, 0xbf7e222b, v25
	;; [unrolled: 1-line block ×9, first 2 shown]
	v_add_f32_e32 v53, v30, v10
	v_mul_f32_e32 v54, 0xbf52af12, v51
	v_add_f32_e32 v11, v31, v11
	v_add_f32_e32 v5, v23, v5
	v_fmamk_f32 v23, v8, 0x3eedf032, v34
	v_fma_f32 v32, 0x3f62ad3f, v26, -v32
	v_fmac_f32_e32 v34, 0xbeedf032, v8
	v_fmamk_f32 v36, v26, 0x3f116cb1, v33
	v_fmamk_f32 v37, v8, 0x3f52af12, v35
	v_fma_f32 v33, 0x3f116cb1, v26, -v33
	v_fmac_f32_e32 v35, 0xbf52af12, v8
	v_fmamk_f32 v39, v26, 0x3df6dbef, v38
	;; [unrolled: 4-line block ×5, first 2 shown]
	v_fmamk_f32 v52, v8, 0x3e750f2a, v9
	v_fma_f32 v25, 0xbf788fa5, v26, -v25
	v_fmac_f32_e32 v9, 0xbe750f2a, v8
	v_sub_f32_e32 v8, v10, v30
	v_fmamk_f32 v10, v53, 0x3f116cb1, v54
	v_mul_f32_e32 v26, 0x3f116cb1, v11
	v_add_f32_e32 v23, v7, v23
	v_add_f32_e32 v32, v6, v32
	;; [unrolled: 1-line block ×24, first 2 shown]
	v_fmamk_f32 v10, v8, 0x3f52af12, v26
	v_mul_f32_e32 v22, 0xbf6f5d39, v51
	v_fma_f32 v25, 0x3f116cb1, v53, -v54
	v_fmac_f32_e32 v26, 0xbf52af12, v8
	v_mul_f32_e32 v31, 0xbeb58ec6, v11
	v_add_f32_e32 v10, v10, v23
	v_fmamk_f32 v23, v53, 0xbeb58ec6, v22
	v_add_f32_e32 v25, v25, v32
	v_add_f32_e32 v26, v26, v34
	v_fmamk_f32 v32, v8, 0x3f6f5d39, v31
	v_mul_f32_e32 v34, 0xbe750f2a, v51
	v_fma_f32 v22, 0xbeb58ec6, v53, -v22
	v_add_f32_e32 v23, v23, v36
	v_fmac_f32_e32 v31, 0xbf6f5d39, v8
	v_add_f32_e32 v32, v32, v37
	v_fmamk_f32 v36, v53, 0xbf788fa5, v34
	v_mul_f32_e32 v37, 0xbf788fa5, v11
	v_add_f32_e32 v22, v22, v33
	v_mul_f32_e32 v33, 0x3f29c268, v51
	v_add_f32_e32 v31, v31, v35
	v_add_f32_e32 v35, v36, v39
	v_fmamk_f32 v36, v8, 0x3e750f2a, v37
	v_fma_f32 v34, 0xbf788fa5, v53, -v34
	v_fmac_f32_e32 v37, 0xbe750f2a, v8
	v_fmamk_f32 v39, v53, 0xbf3f9e67, v33
	v_mul_f32_e32 v52, 0xbf3f9e67, v11
	v_add_f32_e32 v36, v36, v42
	v_add_f32_e32 v34, v34, v38
	;; [unrolled: 1-line block ×4, first 2 shown]
	v_fmamk_f32 v39, v8, 0xbf29c268, v52
	v_mul_f32_e32 v40, 0x3f7e222b, v51
	v_fma_f32 v33, 0xbf3f9e67, v53, -v33
	v_mul_f32_e32 v42, 0x3df6dbef, v11
	v_mul_f32_e32 v11, 0x3f62ad3f, v11
	v_add_f32_e32 v39, v39, v45
	v_fmamk_f32 v43, v53, 0x3df6dbef, v40
	v_mul_f32_e32 v45, 0x3eedf032, v51
	v_fma_f32 v40, 0x3df6dbef, v53, -v40
	v_add_f32_e32 v33, v33, v41
	v_fmamk_f32 v41, v8, 0xbf7e222b, v42
	v_add_f32_e32 v43, v43, v48
	v_fmac_f32_e32 v42, 0x3f7e222b, v8
	v_fmamk_f32 v48, v53, 0x3f62ad3f, v45
	v_add_f32_e32 v40, v40, v46
	v_sub_f32_e32 v46, v13, v29
	v_add_f32_e32 v41, v41, v49
	v_add_f32_e32 v42, v42, v47
	;; [unrolled: 1-line block ×4, first 2 shown]
	v_mul_f32_e32 v50, 0xbf7e222b, v46
	v_add_f32_e32 v13, v29, v13
	v_fmac_f32_e32 v52, 0x3f29c268, v8
	v_fmamk_f32 v48, v8, 0xbeedf032, v11
	v_fma_f32 v29, 0x3f62ad3f, v53, -v45
	v_fmac_f32_e32 v11, 0x3eedf032, v8
	v_sub_f32_e32 v8, v12, v28
	v_fmamk_f32 v12, v49, 0x3df6dbef, v50
	v_mul_f32_e32 v28, 0x3df6dbef, v13
	v_add_f32_e32 v6, v29, v6
	v_add_f32_e32 v7, v11, v7
	v_fma_f32 v29, 0x3df6dbef, v49, -v50
	v_add_f32_e32 v9, v12, v9
	v_fmamk_f32 v11, v8, 0x3f7e222b, v28
	v_mul_f32_e32 v12, 0xbe750f2a, v46
	v_fmac_f32_e32 v28, 0xbf7e222b, v8
	v_mul_f32_e32 v45, 0xbf788fa5, v13
	v_add_f32_e32 v25, v29, v25
	v_add_f32_e32 v10, v11, v10
	v_fmamk_f32 v11, v49, 0xbf788fa5, v12
	v_add_f32_e32 v26, v28, v26
	v_fmamk_f32 v28, v8, 0x3e750f2a, v45
	v_mul_f32_e32 v29, 0x3f6f5d39, v46
	v_add_f32_e32 v30, v48, v30
	v_add_f32_e32 v11, v11, v23
	v_fma_f32 v12, 0xbf788fa5, v49, -v12
	v_add_f32_e32 v23, v28, v32
	v_fmamk_f32 v28, v49, 0xbeb58ec6, v29
	v_mul_f32_e32 v32, 0xbeb58ec6, v13
	v_fmac_f32_e32 v45, 0xbe750f2a, v8
	v_mul_f32_e32 v48, 0x3f62ad3f, v13
	v_add_f32_e32 v12, v12, v22
	v_add_f32_e32 v28, v28, v35
	v_fmamk_f32 v35, v8, 0xbf6f5d39, v32
	v_fmac_f32_e32 v32, 0x3f6f5d39, v8
	v_add_f32_e32 v22, v45, v31
	v_mul_f32_e32 v31, 0x3eedf032, v46
	v_fma_f32 v29, 0xbeb58ec6, v49, -v29
	v_add_f32_e32 v35, v35, v36
	v_add_f32_e32 v32, v32, v37
	v_fmamk_f32 v36, v8, 0xbeedf032, v48
	v_mul_f32_e32 v37, 0xbf52af12, v46
	v_fmamk_f32 v45, v49, 0x3f62ad3f, v31
	v_add_f32_e32 v29, v29, v34
	v_fma_f32 v31, 0x3f62ad3f, v49, -v31
	v_add_f32_e32 v36, v36, v39
	v_fmamk_f32 v39, v49, 0x3f116cb1, v37
	v_fma_f32 v37, 0x3f116cb1, v49, -v37
	v_add_f32_e32 v34, v45, v38
	v_mul_f32_e32 v38, 0x3f116cb1, v13
	v_add_f32_e32 v31, v31, v33
	v_mul_f32_e32 v45, 0xbf29c268, v46
	v_add_f32_e32 v37, v37, v40
	v_sub_f32_e32 v40, v15, v21
	v_fmamk_f32 v33, v8, 0x3f52af12, v38
	v_add_f32_e32 v39, v39, v43
	v_fmac_f32_e32 v38, 0xbf52af12, v8
	v_mul_f32_e32 v13, 0xbf3f9e67, v13
	v_add_f32_e32 v43, v20, v14
	v_mul_f32_e32 v46, 0xbf6f5d39, v40
	v_add_f32_e32 v15, v21, v15
	v_fmac_f32_e32 v48, 0x3eedf032, v8
	v_add_f32_e32 v38, v38, v42
	v_fmamk_f32 v42, v8, 0x3f29c268, v13
	v_fmac_f32_e32 v13, 0xbf29c268, v8
	v_sub_f32_e32 v8, v14, v20
	v_fmamk_f32 v14, v43, 0xbeb58ec6, v46
	v_mul_f32_e32 v20, 0xbeb58ec6, v15
	v_fma_f32 v21, 0xbf3f9e67, v49, -v45
	v_add_f32_e32 v7, v13, v7
	v_add_f32_e32 v30, v42, v30
	;; [unrolled: 1-line block ×3, first 2 shown]
	v_fmamk_f32 v13, v8, 0x3f6f5d39, v20
	v_mul_f32_e32 v14, 0x3f29c268, v40
	v_add_f32_e32 v6, v21, v6
	v_fma_f32 v21, 0xbeb58ec6, v43, -v46
	v_fmac_f32_e32 v20, 0xbf6f5d39, v8
	v_mul_f32_e32 v42, 0xbf3f9e67, v15
	v_add_f32_e32 v10, v13, v10
	v_fmamk_f32 v13, v43, 0xbf3f9e67, v14
	v_add_f32_e32 v21, v21, v25
	v_add_f32_e32 v20, v20, v26
	v_fmamk_f32 v25, v8, 0xbf29c268, v42
	v_mul_f32_e32 v26, 0x3eedf032, v40
	v_add_f32_e32 v11, v13, v11
	v_fma_f32 v13, 0xbf3f9e67, v43, -v14
	v_fmac_f32_e32 v42, 0x3f29c268, v8
	v_add_f32_e32 v14, v25, v23
	v_fmamk_f32 v23, v43, 0x3f62ad3f, v26
	v_mul_f32_e32 v25, 0x3f62ad3f, v15
	v_add_f32_e32 v12, v13, v12
	v_add_f32_e32 v13, v42, v22
	v_mul_f32_e32 v22, 0xbf7e222b, v40
	v_add_f32_e32 v33, v33, v41
	v_fmamk_f32 v41, v49, 0xbf3f9e67, v45
	v_add_f32_e32 v23, v23, v28
	v_fmamk_f32 v28, v8, 0xbeedf032, v25
	v_fma_f32 v26, 0x3f62ad3f, v43, -v26
	v_fmac_f32_e32 v25, 0x3eedf032, v8
	v_fmamk_f32 v42, v43, 0x3df6dbef, v22
	v_mul_f32_e32 v45, 0x3df6dbef, v15
	v_add_f32_e32 v28, v28, v35
	v_add_f32_e32 v26, v26, v29
	;; [unrolled: 1-line block ×4, first 2 shown]
	v_fmamk_f32 v32, v8, 0x3f7e222b, v45
	v_mul_f32_e32 v34, 0x3e750f2a, v40
	v_fma_f32 v22, 0x3df6dbef, v43, -v22
	v_mul_f32_e32 v35, 0xbf788fa5, v15
	v_mul_f32_e32 v40, 0x3f52af12, v40
	v_add_f32_e32 v32, v32, v36
	v_fmamk_f32 v36, v43, 0xbf788fa5, v34
	v_add_f32_e32 v22, v22, v31
	v_fmamk_f32 v31, v8, 0xbe750f2a, v35
	v_fma_f32 v34, 0xbf788fa5, v43, -v34
	v_add_f32_e32 v41, v41, v47
	v_add_f32_e32 v36, v36, v39
	v_fmac_f32_e32 v35, 0x3e750f2a, v8
	v_add_f32_e32 v31, v31, v33
	v_fmamk_f32 v33, v43, 0x3f116cb1, v40
	v_add_f32_e32 v34, v34, v37
	v_sub_f32_e32 v37, v17, v19
	v_mul_f32_e32 v15, 0x3f116cb1, v15
	v_add_f32_e32 v39, v18, v16
	v_add_f32_e32 v33, v33, v41
	;; [unrolled: 1-line block ×3, first 2 shown]
	v_mul_f32_e32 v41, 0xbf29c268, v37
	v_fmac_f32_e32 v45, 0xbf7e222b, v8
	v_add_f32_e32 v35, v35, v38
	v_fmamk_f32 v38, v8, 0xbf52af12, v15
	v_fma_f32 v19, 0x3f116cb1, v43, -v40
	v_fmac_f32_e32 v15, 0x3f52af12, v8
	v_sub_f32_e32 v8, v16, v18
	v_fmamk_f32 v16, v39, 0xbf3f9e67, v41
	v_mul_f32_e32 v18, 0xbf3f9e67, v17
	v_add_f32_e32 v30, v38, v30
	v_add_f32_e32 v6, v19, v6
	;; [unrolled: 1-line block ×4, first 2 shown]
	v_fmamk_f32 v15, v8, 0x3f29c268, v18
	v_mul_f32_e32 v16, 0x3f7e222b, v37
	v_fma_f32 v19, 0xbf3f9e67, v39, -v41
	v_fmac_f32_e32 v18, 0xbf29c268, v8
	v_mul_f32_e32 v38, 0x3df6dbef, v17
	v_add_f32_e32 v10, v15, v10
	v_fmamk_f32 v15, v39, 0x3df6dbef, v16
	v_add_f32_e32 v19, v19, v21
	v_add_f32_e32 v18, v18, v20
	v_fmamk_f32 v20, v8, 0xbf7e222b, v38
	v_mul_f32_e32 v21, 0xbf52af12, v37
	v_add_f32_e32 v11, v15, v11
	v_fma_f32 v15, 0x3df6dbef, v39, -v16
	v_fmac_f32_e32 v38, 0x3f7e222b, v8
	v_add_f32_e32 v14, v20, v14
	v_fmamk_f32 v16, v39, 0x3f116cb1, v21
	v_mul_f32_e32 v20, 0x3f116cb1, v17
	v_add_f32_e32 v12, v15, v12
	v_mul_f32_e32 v15, 0x3e750f2a, v37
	v_fma_f32 v21, 0x3f116cb1, v39, -v21
	v_add_f32_e32 v16, v16, v23
	v_fmamk_f32 v23, v8, 0x3f52af12, v20
	v_mul_f32_e32 v40, 0xbf788fa5, v17
	v_add_f32_e32 v13, v38, v13
	v_fmac_f32_e32 v20, 0xbf52af12, v8
	v_fmamk_f32 v38, v39, 0xbf788fa5, v15
	v_add_f32_e32 v23, v23, v28
	v_add_f32_e32 v21, v21, v26
	v_fmamk_f32 v26, v8, 0xbe750f2a, v40
	v_mul_f32_e32 v28, 0x3eedf032, v37
	v_add_f32_e32 v44, v52, v44
	v_add_f32_e32 v20, v20, v25
	;; [unrolled: 1-line block ×3, first 2 shown]
	v_fma_f32 v15, 0xbf788fa5, v39, -v15
	v_mul_f32_e32 v29, 0x3f62ad3f, v17
	v_add_f32_e32 v26, v26, v32
	v_fmamk_f32 v32, v39, 0x3f62ad3f, v28
	v_fma_f32 v28, 0x3f62ad3f, v39, -v28
	v_add_f32_e32 v44, v48, v44
	v_add_f32_e32 v22, v15, v22
	v_fmamk_f32 v15, v8, 0xbeedf032, v29
	v_mul_f32_e32 v37, 0xbf6f5d39, v37
	v_fmac_f32_e32 v29, 0x3eedf032, v8
	v_add_f32_e32 v28, v28, v34
	v_sub_f32_e32 v34, v1, v3
	v_add_f32_e32 v42, v45, v44
	v_fmac_f32_e32 v40, 0x3e750f2a, v8
	v_add_f32_e32 v32, v32, v36
	v_add_f32_e32 v31, v15, v31
	v_fmamk_f32 v15, v39, 0xbeb58ec6, v37
	v_mul_f32_e32 v17, 0xbeb58ec6, v17
	v_add_f32_e32 v29, v29, v35
	v_add_f32_e32 v35, v2, v0
	v_mul_f32_e32 v36, 0xbe750f2a, v34
	v_add_f32_e32 v38, v40, v42
	v_add_f32_e32 v33, v15, v33
	v_fmamk_f32 v15, v8, 0x3f6f5d39, v17
	v_add_f32_e32 v40, v3, v1
	v_fma_f32 v1, 0xbeb58ec6, v39, -v37
	v_fmac_f32_e32 v17, 0xbf6f5d39, v8
	v_sub_f32_e32 v37, v0, v2
	v_fmamk_f32 v0, v35, 0xbf788fa5, v36
	v_mul_f32_e32 v3, 0xbf788fa5, v40
	v_add_f32_e32 v30, v15, v30
	v_add_f32_e32 v41, v17, v7
	v_mul_f32_e32 v7, 0x3eedf032, v34
	v_add_f32_e32 v0, v0, v9
	v_mul_f32_e32 v9, 0x3f62ad3f, v40
	v_add_f32_e32 v39, v1, v6
	v_fmamk_f32 v1, v37, 0x3e750f2a, v3
	v_fmamk_f32 v6, v35, 0x3f62ad3f, v7
	v_mul_f32_e32 v15, 0xbf29c268, v34
	v_fmamk_f32 v8, v37, 0xbeedf032, v9
	v_fmac_f32_e32 v3, 0xbe750f2a, v37
	v_add_f32_e32 v1, v1, v10
	v_add_f32_e32 v6, v6, v11
	v_fma_f32 v10, 0x3f62ad3f, v35, -v7
	v_add_f32_e32 v7, v8, v14
	v_fmamk_f32 v11, v35, 0xbf3f9e67, v15
	v_mul_f32_e32 v14, 0xbf3f9e67, v40
	v_mul_f32_e32 v17, 0x3f52af12, v34
	v_fma_f32 v2, 0xbf788fa5, v35, -v36
	v_add_f32_e32 v3, v3, v18
	v_fmac_f32_e32 v9, 0x3eedf032, v37
	v_add_f32_e32 v8, v10, v12
	v_add_f32_e32 v10, v11, v16
	v_fmamk_f32 v11, v37, 0x3f29c268, v14
	v_fma_f32 v12, 0xbf3f9e67, v35, -v15
	v_fmac_f32_e32 v14, 0xbf29c268, v37
	v_fmamk_f32 v15, v35, 0x3f116cb1, v17
	v_mul_f32_e32 v18, 0x3f116cb1, v40
	v_add_f32_e32 v2, v2, v19
	v_add_f32_e32 v9, v9, v13
	;; [unrolled: 1-line block ×5, first 2 shown]
	v_fmamk_f32 v15, v37, 0xbf52af12, v18
	v_fma_f32 v16, 0x3f116cb1, v35, -v17
	v_mul_f32_e32 v19, 0xbf6f5d39, v34
	v_mul_f32_e32 v21, 0xbeb58ec6, v40
	v_fmac_f32_e32 v18, 0x3f52af12, v37
	v_add_f32_e32 v11, v11, v23
	v_add_f32_e32 v15, v15, v26
	;; [unrolled: 1-line block ×3, first 2 shown]
	v_fmamk_f32 v20, v37, 0x3f6f5d39, v21
	v_fma_f32 v22, 0xbeb58ec6, v35, -v19
	v_mul_f32_e32 v23, 0x3f7e222b, v34
	v_mul_f32_e32 v26, 0x3df6dbef, v40
	v_add_f32_e32 v17, v18, v38
	v_fmamk_f32 v18, v35, 0xbeb58ec6, v19
	v_add_f32_e32 v19, v20, v31
	v_add_f32_e32 v20, v22, v28
	v_fmamk_f32 v22, v35, 0x3df6dbef, v23
	v_fmamk_f32 v25, v37, 0xbf7e222b, v26
	v_fma_f32 v28, 0x3df6dbef, v35, -v23
	v_fmac_f32_e32 v26, 0x3f7e222b, v37
	v_fmac_f32_e32 v21, 0xbf6f5d39, v37
	v_add_f32_e32 v18, v18, v32
	v_add_f32_e32 v22, v22, v33
	;; [unrolled: 1-line block ×6, first 2 shown]
	ds_write2_b64 v27, v[4:5], v[0:1] offset1:1
	ds_write2_b64 v27, v[6:7], v[10:11] offset0:2 offset1:3
	ds_write2_b64 v27, v[14:15], v[18:19] offset0:4 offset1:5
	;; [unrolled: 1-line block ×5, first 2 shown]
	ds_write_b64 v27, v[2:3] offset:96
	s_waitcnt lgkmcnt(0)
	s_barrier
	buffer_gl0_inv
	ds_read2_b64 v[0:3], v27 offset1:1
	ds_read2_b64 v[4:7], v27 offset0:2 offset1:3
	s_waitcnt lgkmcnt(1)
	v_mul_f32_e32 v8, s37, v1
	v_mul_f32_e32 v9, s37, v0
	;; [unrolled: 1-line block ×4, first 2 shown]
	s_waitcnt lgkmcnt(0)
	v_mul_f32_e32 v14, s41, v5
	v_fmac_f32_e32 v8, s36, v0
	v_fma_f32 v9, s36, v1, -v9
	v_fma_f32 v12, s38, v3, -v11
	v_mul_f32_e32 v15, s41, v4
	v_fmac_f32_e32 v10, s38, v2
	v_cvt_f64_f32_e32 v[0:1], v8
	v_cvt_f64_f32_e32 v[8:9], v9
	;; [unrolled: 1-line block ×3, first 2 shown]
	v_fmac_f32_e32 v14, s40, v4
	v_fma_f32 v15, s40, v5, -v15
	v_cvt_f64_f32_e32 v[2:3], v10
	v_mad_u64_u32 v[10:11], null, s2, v24, 0
	v_cvt_f64_f32_e32 v[4:5], v14
	v_cvt_f64_f32_e32 v[14:15], v15
	v_mul_f32_e32 v22, s43, v7
	v_mul_f32_e32 v23, s43, v6
	v_fmac_f32_e32 v22, s42, v6
	v_fma_f32 v6, s42, v7, -v23
	v_mul_f64 v[16:17], v[0:1], s[6:7]
	v_mul_f64 v[8:9], v[8:9], s[6:7]
	v_mad_u64_u32 v[0:1], null, s3, v24, v[11:12]
	s_load_dwordx2 s[2:3], s[4:5], 0x38
	v_mul_f64 v[18:19], v[2:3], s[6:7]
	v_mul_f64 v[12:13], v[12:13], s[6:7]
	;; [unrolled: 1-line block ×3, first 2 shown]
	v_mov_b32_e32 v11, v0
	ds_read2_b64 v[0:3], v27 offset0:4 offset1:5
	v_lshlrev_b64 v[4:5], 3, v[10:11]
	v_mul_f64 v[10:11], v[14:15], s[6:7]
	v_cvt_f32_f64_e32 v14, v[16:17]
	v_cvt_f64_f32_e32 v[16:17], v22
	s_waitcnt lgkmcnt(0)
	v_add_co_u32 v22, vcc_lo, s2, v4
	v_cvt_f32_f64_e32 v15, v[8:9]
	v_cvt_f64_f32_e32 v[8:9], v6
	v_add_co_ci_u32_e32 v23, vcc_lo, s3, v5, vcc_lo
	ds_read2_b64 v[4:7], v27 offset0:6 offset1:7
	v_mul_f32_e32 v24, s45, v1
	v_mul_f32_e32 v25, s45, v0
	v_cvt_f32_f64_e32 v18, v[18:19]
	v_cvt_f32_f64_e32 v19, v[12:13]
	s_lshl_b64 s[2:3], s[0:1], 3
	v_fmac_f32_e32 v24, s44, v0
	v_fma_f32 v25, s44, v1, -v25
	v_add_co_u32 v12, vcc_lo, v22, s2
	v_add_co_ci_u32_e32 v13, vcc_lo, s3, v23, vcc_lo
	v_cvt_f32_f64_e32 v20, v[20:21]
	v_cvt_f32_f64_e32 v21, v[10:11]
	v_cvt_f64_f32_e32 v[10:11], v24
	v_mul_f64 v[0:1], v[16:17], s[6:7]
	v_cvt_f64_f32_e32 v[16:17], v25
	v_mul_f32_e32 v24, s47, v3
	v_mul_f32_e32 v25, s47, v2
	global_store_dwordx2 v[22:23], v[14:15], off
	global_store_dwordx2 v[12:13], v[18:19], off
	s_waitcnt lgkmcnt(0)
	v_mul_f32_e32 v26, s49, v5
	v_mul_f32_e32 v28, s49, v4
	v_fmac_f32_e32 v24, s46, v2
	v_fma_f32 v25, s46, v3, -v25
	v_mul_f64 v[8:9], v[8:9], s[6:7]
	v_fmac_f32_e32 v26, s48, v4
	v_fma_f32 v28, s48, v5, -v28
	v_cvt_f64_f32_e32 v[2:3], v24
	v_cvt_f64_f32_e32 v[4:5], v25
	v_mad_u64_u32 v[30:31], null, s0, 24, v[22:23]
	v_cvt_f32_f64_e32 v13, v[0:1]
	v_cvt_f64_f32_e32 v[24:25], v26
	v_cvt_f64_f32_e32 v[28:29], v28
	v_mul_f64 v[10:11], v[10:11], s[6:7]
	v_mul_f64 v[16:17], v[16:17], s[6:7]
	s_lshl_b64 s[2:3], s[0:1], 4
	v_mov_b32_e32 v12, v31
	v_add_co_u32 v34, vcc_lo, v22, s2
	v_add_co_ci_u32_e32 v35, vcc_lo, s3, v23, vcc_lo
	v_mul_f32_e32 v32, s51, v7
	s_lshl_b64 s[2:3], s[0:1], 5
	global_store_dwordx2 v[34:35], v[20:21], off
	v_cvt_f32_f64_e32 v14, v[8:9]
	v_fmac_f32_e32 v32, s50, v6
	v_add_co_u32 v36, vcc_lo, v22, s2
	v_mul_f64 v[8:9], v[2:3], s[6:7]
	v_mul_f64 v[18:19], v[4:5], s[6:7]
	v_cvt_f64_f32_e32 v[32:33], v32
	v_mad_u64_u32 v[0:1], null, s1, 24, v[12:13]
	v_mul_f32_e32 v1, s51, v6
	v_mul_f64 v[20:21], v[24:25], s[6:7]
	v_mul_f64 v[24:25], v[28:29], s[6:7]
	v_mad_u64_u32 v[28:29], null, s0, 40, v[22:23]
	v_fma_f32 v1, s50, v7, -v1
	v_mov_b32_e32 v31, v0
	v_cvt_f32_f64_e32 v10, v[10:11]
	v_cvt_f32_f64_e32 v11, v[16:17]
	v_mad_u64_u32 v[15:16], null, s0, 48, v[22:23]
	v_cvt_f64_f32_e32 v[34:35], v1
	ds_read2_b64 v[0:3], v27 offset0:8 offset1:9
	ds_read2_b64 v[4:7], v27 offset0:10 offset1:11
	v_mov_b32_e32 v12, v29
	ds_read_b64 v[26:27], v27 offset:96
	v_add_co_ci_u32_e32 v37, vcc_lo, s3, v23, vcc_lo
	v_cvt_f32_f64_e32 v8, v[8:9]
	v_cvt_f32_f64_e32 v9, v[18:19]
	v_mad_u64_u32 v[17:18], null, s1, 40, v[12:13]
	v_mov_b32_e32 v12, v16
	v_cvt_f32_f64_e32 v18, v[20:21]
	v_cvt_f32_f64_e32 v19, v[24:25]
	v_mul_f64 v[32:33], v[32:33], s[6:7]
	s_lshl_b64 s[2:3], s[0:1], 6
	v_mad_u64_u32 v[44:45], null, s1, 48, v[12:13]
	s_waitcnt lgkmcnt(2)
	v_mul_f32_e32 v16, s9, v1
	v_mul_f32_e32 v29, s11, v2
	v_mul_f64 v[24:25], v[34:35], s[6:7]
	v_mul_f32_e32 v21, s11, v3
	s_waitcnt lgkmcnt(1)
	v_mul_f32_e32 v40, s13, v5
	v_fmac_f32_e32 v16, s8, v0
	v_mul_f32_e32 v0, s9, v0
	s_waitcnt lgkmcnt(0)
	v_mul_f32_e32 v42, s17, v26
	v_fmac_f32_e32 v21, s10, v2
	v_fmac_f32_e32 v40, s12, v4
	v_cvt_f64_f32_e32 v[34:35], v16
	v_fma_f32 v16, s10, v3, -v29
	v_fma_f32 v0, s8, v1, -v0
	v_cvt_f64_f32_e32 v[2:3], v21
	v_mul_f32_e32 v21, s15, v6
	v_cvt_f64_f32_e32 v[40:41], v40
	v_cvt_f64_f32_e32 v[38:39], v16
	v_mul_f32_e32 v16, s15, v7
	v_cvt_f64_f32_e32 v[0:1], v0
	v_fma_f32 v43, s14, v7, -v21
	v_mul_f32_e32 v4, s13, v4
	v_mul_f32_e32 v29, s17, v27
	v_fmac_f32_e32 v16, s14, v6
	v_fma_f32 v42, s16, v27, -v42
	v_cvt_f32_f64_e32 v21, v[24:25]
	v_fma_f32 v4, s12, v5, -v4
	v_fmac_f32_e32 v29, s16, v26
	v_cvt_f64_f32_e32 v[6:7], v16
	v_cvt_f64_f32_e32 v[24:25], v43
	;; [unrolled: 1-line block ×5, first 2 shown]
	v_cvt_f32_f64_e32 v20, v[32:33]
	v_mad_u64_u32 v[32:33], null, s0, 56, v[22:23]
	v_mul_f64 v[2:3], v[2:3], s[6:7]
	v_mul_f64 v[34:35], v[34:35], s[6:7]
	;; [unrolled: 1-line block ×3, first 2 shown]
	v_mov_b32_e32 v29, v17
	v_mul_f64 v[38:39], v[38:39], s[6:7]
	v_mul_f64 v[0:1], v[0:1], s[6:7]
	v_mov_b32_e32 v12, v33
	v_mov_b32_e32 v16, v44
	global_store_dwordx2 v[30:31], v[13:14], off
	global_store_dwordx2 v[36:37], v[10:11], off
	;; [unrolled: 1-line block ×4, first 2 shown]
	v_mad_u64_u32 v[18:19], null, 0x50, s0, v[22:23]
	v_mad_u64_u32 v[45:46], null, s1, 56, v[12:13]
	v_mul_f64 v[6:7], v[6:7], s[6:7]
	v_mul_f64 v[8:9], v[24:25], s[6:7]
	;; [unrolled: 1-line block ×5, first 2 shown]
	v_mad_u64_u32 v[14:15], null, 0x48, s0, v[22:23]
	v_mov_b32_e32 v33, v45
	v_mad_u64_u32 v[24:25], null, 0x60, s0, v[22:23]
	v_cvt_f32_f64_e32 v16, v[34:35]
	global_store_dwordx2 v[32:33], v[20:21], off
	v_cvt_f32_f64_e32 v17, v[0:1]
	v_cvt_f32_f64_e32 v0, v[2:3]
	;; [unrolled: 1-line block ×3, first 2 shown]
	v_mad_u64_u32 v[20:21], null, 0x58, s0, v[22:23]
	v_cvt_f32_f64_e32 v1, v[38:39]
	v_mov_b32_e32 v2, v15
	v_add_co_u32 v22, vcc_lo, v22, s2
	v_cvt_f32_f64_e32 v6, v[6:7]
	v_cvt_f32_f64_e32 v7, v[8:9]
	;; [unrolled: 1-line block ×4, first 2 shown]
	v_mov_b32_e32 v5, v19
	v_cvt_f32_f64_e32 v8, v[10:11]
	v_add_co_ci_u32_e32 v23, vcc_lo, s3, v23, vcc_lo
	v_mad_u64_u32 v[10:11], null, 0x48, s1, v[2:3]
	v_mov_b32_e32 v2, v21
	v_mov_b32_e32 v11, v25
	v_mad_u64_u32 v[12:13], null, 0x50, s1, v[5:6]
	v_mad_u64_u32 v[25:26], null, 0x58, s1, v[2:3]
	v_mov_b32_e32 v15, v10
	v_mad_u64_u32 v[26:27], null, 0x60, s1, v[11:12]
	v_mov_b32_e32 v19, v12
	v_mov_b32_e32 v21, v25
	;; [unrolled: 1-line block ×3, first 2 shown]
	global_store_dwordx2 v[22:23], v[16:17], off
	global_store_dwordx2 v[14:15], v[0:1], off
	;; [unrolled: 1-line block ×5, first 2 shown]
.LBB0_2:
	s_endpgm
	.section	.rodata,"a",@progbits
	.p2align	6, 0x0
	.amdhsa_kernel bluestein_single_fwd_len13_dim1_sp_op_CI_CI
		.amdhsa_group_segment_fixed_size 6656
		.amdhsa_private_segment_fixed_size 0
		.amdhsa_kernarg_size 104
		.amdhsa_user_sgpr_count 6
		.amdhsa_user_sgpr_private_segment_buffer 1
		.amdhsa_user_sgpr_dispatch_ptr 0
		.amdhsa_user_sgpr_queue_ptr 0
		.amdhsa_user_sgpr_kernarg_segment_ptr 1
		.amdhsa_user_sgpr_dispatch_id 0
		.amdhsa_user_sgpr_flat_scratch_init 0
		.amdhsa_user_sgpr_private_segment_size 0
		.amdhsa_wavefront_size32 1
		.amdhsa_uses_dynamic_stack 0
		.amdhsa_system_sgpr_private_segment_wavefront_offset 0
		.amdhsa_system_sgpr_workgroup_id_x 1
		.amdhsa_system_sgpr_workgroup_id_y 0
		.amdhsa_system_sgpr_workgroup_id_z 0
		.amdhsa_system_sgpr_workgroup_info 0
		.amdhsa_system_vgpr_workitem_id 0
		.amdhsa_next_free_vgpr 123
		.amdhsa_next_free_sgpr 68
		.amdhsa_reserve_vcc 1
		.amdhsa_reserve_flat_scratch 0
		.amdhsa_float_round_mode_32 0
		.amdhsa_float_round_mode_16_64 0
		.amdhsa_float_denorm_mode_32 3
		.amdhsa_float_denorm_mode_16_64 3
		.amdhsa_dx10_clamp 1
		.amdhsa_ieee_mode 1
		.amdhsa_fp16_overflow 0
		.amdhsa_workgroup_processor_mode 1
		.amdhsa_memory_ordered 1
		.amdhsa_forward_progress 0
		.amdhsa_shared_vgpr_count 0
		.amdhsa_exception_fp_ieee_invalid_op 0
		.amdhsa_exception_fp_denorm_src 0
		.amdhsa_exception_fp_ieee_div_zero 0
		.amdhsa_exception_fp_ieee_overflow 0
		.amdhsa_exception_fp_ieee_underflow 0
		.amdhsa_exception_fp_ieee_inexact 0
		.amdhsa_exception_int_div_zero 0
	.end_amdhsa_kernel
	.text
.Lfunc_end0:
	.size	bluestein_single_fwd_len13_dim1_sp_op_CI_CI, .Lfunc_end0-bluestein_single_fwd_len13_dim1_sp_op_CI_CI
                                        ; -- End function
	.section	.AMDGPU.csdata,"",@progbits
; Kernel info:
; codeLenInByte = 8256
; NumSgprs: 70
; NumVgprs: 123
; ScratchSize: 0
; MemoryBound: 0
; FloatMode: 240
; IeeeMode: 1
; LDSByteSize: 6656 bytes/workgroup (compile time only)
; SGPRBlocks: 8
; VGPRBlocks: 15
; NumSGPRsForWavesPerEU: 70
; NumVGPRsForWavesPerEU: 123
; Occupancy: 8
; WaveLimiterHint : 1
; COMPUTE_PGM_RSRC2:SCRATCH_EN: 0
; COMPUTE_PGM_RSRC2:USER_SGPR: 6
; COMPUTE_PGM_RSRC2:TRAP_HANDLER: 0
; COMPUTE_PGM_RSRC2:TGID_X_EN: 1
; COMPUTE_PGM_RSRC2:TGID_Y_EN: 0
; COMPUTE_PGM_RSRC2:TGID_Z_EN: 0
; COMPUTE_PGM_RSRC2:TIDIG_COMP_CNT: 0
	.text
	.p2alignl 6, 3214868480
	.fill 48, 4, 3214868480
	.type	__hip_cuid_1c801f656db370d0,@object ; @__hip_cuid_1c801f656db370d0
	.section	.bss,"aw",@nobits
	.globl	__hip_cuid_1c801f656db370d0
__hip_cuid_1c801f656db370d0:
	.byte	0                               ; 0x0
	.size	__hip_cuid_1c801f656db370d0, 1

	.ident	"AMD clang version 19.0.0git (https://github.com/RadeonOpenCompute/llvm-project roc-6.4.0 25133 c7fe45cf4b819c5991fe208aaa96edf142730f1d)"
	.section	".note.GNU-stack","",@progbits
	.addrsig
	.addrsig_sym __hip_cuid_1c801f656db370d0
	.amdgpu_metadata
---
amdhsa.kernels:
  - .args:
      - .actual_access:  read_only
        .address_space:  global
        .offset:         0
        .size:           8
        .value_kind:     global_buffer
      - .actual_access:  read_only
        .address_space:  global
        .offset:         8
        .size:           8
        .value_kind:     global_buffer
      - .actual_access:  read_only
        .address_space:  global
        .offset:         16
        .size:           8
        .value_kind:     global_buffer
      - .actual_access:  read_only
        .address_space:  global
        .offset:         24
        .size:           8
        .value_kind:     global_buffer
      - .actual_access:  read_only
        .address_space:  global
        .offset:         32
        .size:           8
        .value_kind:     global_buffer
      - .offset:         40
        .size:           8
        .value_kind:     by_value
      - .address_space:  global
        .offset:         48
        .size:           8
        .value_kind:     global_buffer
      - .address_space:  global
        .offset:         56
        .size:           8
        .value_kind:     global_buffer
      - .address_space:  global
        .offset:         64
        .size:           8
        .value_kind:     global_buffer
      - .address_space:  global
        .offset:         72
        .size:           8
        .value_kind:     global_buffer
      - .offset:         80
        .size:           4
        .value_kind:     by_value
      - .address_space:  global
        .offset:         88
        .size:           8
        .value_kind:     global_buffer
      - .address_space:  global
        .offset:         96
        .size:           8
        .value_kind:     global_buffer
    .group_segment_fixed_size: 6656
    .kernarg_segment_align: 8
    .kernarg_segment_size: 104
    .language:       OpenCL C
    .language_version:
      - 2
      - 0
    .max_flat_workgroup_size: 64
    .name:           bluestein_single_fwd_len13_dim1_sp_op_CI_CI
    .private_segment_fixed_size: 0
    .sgpr_count:     70
    .sgpr_spill_count: 0
    .symbol:         bluestein_single_fwd_len13_dim1_sp_op_CI_CI.kd
    .uniform_work_group_size: 1
    .uses_dynamic_stack: false
    .vgpr_count:     123
    .vgpr_spill_count: 0
    .wavefront_size: 32
    .workgroup_processor_mode: 1
amdhsa.target:   amdgcn-amd-amdhsa--gfx1030
amdhsa.version:
  - 1
  - 2
...

	.end_amdgpu_metadata
